;; amdgpu-corpus repo=zjin-lcf/HeCBench kind=compiled arch=gfx906 opt=O3
	.amdgcn_target "amdgcn-amd-amdhsa--gfx906"
	.amdhsa_code_object_version 6
	.text
	.protected	_Z9conv_rowsPfPKfS1_iii ; -- Begin function _Z9conv_rowsPfPKfS1_iii
	.globl	_Z9conv_rowsPfPKfS1_iii
	.p2align	8
	.type	_Z9conv_rowsPfPKfS1_iii,@function
_Z9conv_rowsPfPKfS1_iii:                ; @_Z9conv_rowsPfPKfS1_iii
; %bb.0:
	s_load_dword s0, s[4:5], 0x20
	s_lshl_b32 s1, s6, 7
	v_add3_u32 v4, v0, s1, -16
	v_lshl_add_u32 v2, s7, 2, v1
	v_lshlrev_b32_e32 v0, 2, v0
	s_waitcnt lgkmcnt(0)
	v_mad_u64_u32 v[2:3], s[0:1], s0, v2, v[4:5]
	s_load_dwordx4 s[0:3], s[4:5], 0x0
	s_load_dwordx2 s[20:21], s[4:5], 0x10
	v_mov_b32_e32 v7, 0
	v_ashrrev_i32_e32 v3, 31, v2
	v_lshlrev_b64 v[2:3], 2, v[2:3]
	s_waitcnt lgkmcnt(0)
	v_mov_b32_e32 v6, s3
	v_add_co_u32_e32 v5, vcc, s2, v2
	v_addc_co_u32_e32 v6, vcc, v6, v3, vcc
	global_load_dword v8, v[5:6], off offset:64
	global_load_dword v9, v[5:6], off offset:128
	;; [unrolled: 1-line block ×8, first 2 shown]
	s_movk_i32 s2, 0x280
	v_mad_u32_u24 v10, v1, s2, v0
	v_cmp_lt_i32_e32 vcc, -1, v4
	v_mov_b32_e32 v0, 0
	s_waitcnt vmcnt(6)
	ds_write2_b32 v10, v8, v9 offset0:16 offset1:32
	s_waitcnt vmcnt(4)
	ds_write2_b32 v10, v11, v12 offset0:48 offset1:64
	;; [unrolled: 2-line block ×4, first 2 shown]
	s_and_saveexec_b64 s[2:3], vcc
	s_cbranch_execz .LBB0_2
; %bb.1:
	global_load_dword v0, v[5:6], off
.LBB0_2:
	s_or_b64 exec, exec, s[2:3]
	s_load_dword s2, s[4:5], 0x18
	s_waitcnt vmcnt(0)
	ds_write_b32 v10, v0
	v_add_u32_e32 v0, 0x90, v4
	s_waitcnt lgkmcnt(0)
	v_cmp_gt_i32_e32 vcc, s2, v0
	s_and_saveexec_b64 s[2:3], vcc
	s_cbranch_execz .LBB0_4
; %bb.3:
	global_load_dword v7, v[5:6], off offset:576
.LBB0_4:
	s_or_b64 exec, exec, s[2:3]
	v_mov_b32_e32 v1, s1
	v_add_co_u32_e32 v0, vcc, s0, v2
	s_waitcnt vmcnt(0)
	ds_write_b32 v10, v7 offset:576
	s_waitcnt lgkmcnt(0)
	s_barrier
	s_load_dwordx2 s[0:1], s[20:21], 0x4
	s_load_dwordx2 s[2:3], s[20:21], 0x8
	;; [unrolled: 1-line block ×10, first 2 shown]
	v_addc_co_u32_e32 v1, vcc, v1, v3, vcc
	ds_read2_b32 v[8:9], v10 offset0:8 offset1:9
	ds_read2_b32 v[4:5], v10 offset0:10 offset1:11
	;; [unrolled: 1-line block ×4, first 2 shown]
	s_load_dwordx2 s[22:23], s[20:21], 0x3c
	s_load_dword s33, s[20:21], 0x38
	s_load_dword s38, s[20:21], 0x38
	s_waitcnt lgkmcnt(0)
	v_fma_f32 v11, s19, v8, 0
	v_fmac_f32_e32 v11, s17, v9
	s_load_dword s52, s[20:21], 0x34
	s_load_dword s19, s[20:21], 0x34
	v_fmac_f32_e32 v11, s15, v4
	s_load_dwordx2 s[28:29], s[20:21], 0x30
	s_load_dword s53, s[20:21], 0x2c
	s_load_dword s54, s[20:21], 0x30
	;; [unrolled: 1-line block ×4, first 2 shown]
	s_waitcnt lgkmcnt(0)
	v_fmac_f32_e32 v11, s29, v5
	s_load_dword s56, s[20:21], 0x28
	s_load_dword s41, s[20:21], 0x28
	s_load_dwordx2 s[34:35], s[20:21], 0x24
	s_load_dword s55, s[20:21], 0x20
	s_load_dword s57, s[20:21], 0x24
	s_load_dword s43, s[20:21], 0x24
	s_load_dword s42, s[20:21], 0x20
	ds_read2_b32 v[4:5], v10 offset0:16 offset1:17
	v_fmac_f32_e32 v11, s13, v6
	v_fmac_f32_e32 v11, s11, v7
	s_load_dwordx2 s[24:25], s[20:21], 0x1c
	s_load_dword s58, s[20:21], 0x1c
	s_load_dword s44, s[20:21], 0x1c
	s_waitcnt lgkmcnt(0)
	v_fmac_f32_e32 v11, s35, v2
	v_fmac_f32_e32 v11, s9, v3
	ds_read2_b32 v[2:3], v10 offset0:18 offset1:19
	ds_read2_b32 v[6:7], v10 offset0:20 offset1:21
	;; [unrolled: 1-line block ×3, first 2 shown]
	v_fmac_f32_e32 v11, s25, v4
	s_load_dwordx2 s[26:27], s[20:21], 0x18
	s_load_dword s59, s[20:21], 0x14
	s_load_dword s60, s[20:21], 0x18
	;; [unrolled: 1-line block ×4, first 2 shown]
	s_waitcnt lgkmcnt(0)
	v_fmac_f32_e32 v11, s27, v5
	s_load_dword s61, s[20:21], 0x10
	s_load_dword s47, s[20:21], 0x10
	v_fmac_f32_e32 v11, s7, v2
	s_load_dwordx2 s[30:31], s[20:21], 0xc
	s_load_dword s62, s[20:21], 0x8
	s_load_dword s63, s[20:21], 0xc
	;; [unrolled: 1-line block ×6, first 2 shown]
	s_load_dwordx2 s[36:37], s[20:21], 0x0
	v_fmac_f32_e32 v11, s5, v3
	ds_read2_b32 v[2:3], v10 offset0:24 offset1:25
	s_waitcnt lgkmcnt(0)
	v_fmac_f32_e32 v11, s31, v6
	v_fmac_f32_e32 v11, s3, v7
	s_load_dword s66, s[20:21], 0x0
	s_load_dword s65, s[20:21], 0x0
	;; [unrolled: 1-line block ×3, first 2 shown]
	v_fmac_f32_e32 v11, s1, v8
	v_fmac_f32_e32 v11, s37, v9
	ds_read2_b32 v[4:5], v10 offset0:26 offset1:27
	ds_read2_b32 v[6:7], v10 offset0:28 offset1:29
	;; [unrolled: 1-line block ×3, first 2 shown]
	s_waitcnt lgkmcnt(0)
	v_fmac_f32_e32 v11, s66, v2
	global_store_dword v[0:1], v11, off offset:64
	v_fma_f32 v11, s23, v2, 0
	v_fmac_f32_e32 v11, s17, v3
	v_fmac_f32_e32 v11, s15, v4
	;; [unrolled: 1-line block ×3, first 2 shown]
	ds_read2_b32 v[2:3], v10 offset0:32 offset1:33
	v_fmac_f32_e32 v11, s13, v6
	v_fmac_f32_e32 v11, s11, v7
	;; [unrolled: 1-line block ×4, first 2 shown]
	ds_read2_b32 v[4:5], v10 offset0:34 offset1:35
	ds_read2_b32 v[6:7], v10 offset0:36 offset1:37
	;; [unrolled: 1-line block ×3, first 2 shown]
	s_waitcnt lgkmcnt(3)
	v_fmac_f32_e32 v11, s25, v2
	v_fmac_f32_e32 v11, s27, v3
	s_waitcnt lgkmcnt(2)
	v_fmac_f32_e32 v11, s7, v4
	v_fmac_f32_e32 v11, s5, v5
	;; [unrolled: 3-line block ×3, first 2 shown]
	s_waitcnt lgkmcnt(0)
	v_fmac_f32_e32 v11, s1, v8
	ds_read2_b32 v[6:7], v10 offset0:40 offset1:41
	v_fmac_f32_e32 v11, s37, v9
	ds_read2_b32 v[8:9], v10 offset0:42 offset1:43
	ds_read2_b32 v[4:5], v10 offset0:44 offset1:45
	ds_read2_b32 v[2:3], v10 offset0:46 offset1:47
	s_load_dword s1, s[20:21], 0x3c
	s_waitcnt lgkmcnt(0)
	v_fmac_f32_e32 v11, s66, v6
	v_fma_f32 v6, s23, v6, 0
	global_store_dword v[0:1], v11, off offset:128
	v_fmac_f32_e32 v6, s1, v7
	v_fmac_f32_e32 v6, s33, v8
	;; [unrolled: 1-line block ×4, first 2 shown]
	s_load_dword s3, s[20:21], 0x40
	s_load_dword s5, s[20:21], 0x40
	;; [unrolled: 1-line block ×3, first 2 shown]
	v_fmac_f32_e32 v6, s53, v5
	ds_read2_b32 v[4:5], v10 offset0:48 offset1:49
	v_fmac_f32_e32 v6, s56, v2
	v_fmac_f32_e32 v6, s57, v3
	ds_read2_b32 v[2:3], v10 offset0:50 offset1:51
	ds_read2_b32 v[7:8], v10 offset0:52 offset1:53
	;; [unrolled: 1-line block ×3, first 2 shown]
	s_waitcnt lgkmcnt(0)
	v_fmac_f32_e32 v6, s55, v4
	v_fmac_f32_e32 v6, s58, v5
	;; [unrolled: 1-line block ×4, first 2 shown]
	ds_read2_b32 v[2:3], v10 offset0:56 offset1:57
	v_fmac_f32_e32 v6, s61, v7
	v_fmac_f32_e32 v6, s63, v8
	;; [unrolled: 1-line block ×4, first 2 shown]
	ds_read2_b32 v[4:5], v10 offset0:58 offset1:59
	ds_read2_b32 v[7:8], v10 offset0:60 offset1:61
	;; [unrolled: 1-line block ×3, first 2 shown]
	s_waitcnt lgkmcnt(3)
	v_fma_f32 v13, s3, v2, 0
	v_fmac_f32_e32 v13, s1, v3
	s_waitcnt lgkmcnt(2)
	v_fmac_f32_e32 v13, s33, v4
	v_fmac_f32_e32 v6, s65, v2
	;; [unrolled: 1-line block ×3, first 2 shown]
	ds_read2_b32 v[2:3], v10 offset0:64 offset1:65
	s_waitcnt lgkmcnt(2)
	v_fmac_f32_e32 v13, s54, v7
	v_fmac_f32_e32 v13, s53, v8
	global_store_dword v[0:1], v6, off offset:192
	s_waitcnt lgkmcnt(1)
	v_fmac_f32_e32 v13, s56, v11
	v_fmac_f32_e32 v13, s57, v12
	ds_read2_b32 v[4:5], v10 offset0:66 offset1:67
	ds_read2_b32 v[6:7], v10 offset0:68 offset1:69
	;; [unrolled: 1-line block ×3, first 2 shown]
	s_waitcnt lgkmcnt(3)
	v_fmac_f32_e32 v13, s55, v2
	v_fmac_f32_e32 v13, s58, v3
	s_waitcnt lgkmcnt(2)
	v_fmac_f32_e32 v13, s60, v4
	v_fmac_f32_e32 v13, s59, v5
	ds_read2_b32 v[2:3], v10 offset0:72 offset1:73
	s_waitcnt lgkmcnt(2)
	v_fmac_f32_e32 v13, s61, v6
	v_fmac_f32_e32 v13, s63, v7
	s_waitcnt lgkmcnt(1)
	v_fmac_f32_e32 v13, s62, v8
	v_fmac_f32_e32 v13, s64, v9
	ds_read2_b32 v[4:5], v10 offset0:74 offset1:75
	ds_read2_b32 v[6:7], v10 offset0:76 offset1:77
	ds_read2_b32 v[8:9], v10 offset0:78 offset1:79
	s_waitcnt lgkmcnt(3)
	v_fma_f32 v11, s3, v2, 0
	v_fmac_f32_e32 v11, s22, v3
	s_waitcnt lgkmcnt(2)
	v_fmac_f32_e32 v11, s38, v4
	v_fmac_f32_e32 v13, s65, v2
	;; [unrolled: 1-line block ×3, first 2 shown]
	ds_read2_b32 v[2:3], v10 offset0:80 offset1:81
	s_waitcnt lgkmcnt(2)
	v_fmac_f32_e32 v11, s40, v6
	v_fmac_f32_e32 v11, s39, v7
	global_store_dword v[0:1], v13, off offset:256
	s_waitcnt lgkmcnt(1)
	v_fmac_f32_e32 v11, s41, v8
	v_fmac_f32_e32 v11, s43, v9
	ds_read2_b32 v[4:5], v10 offset0:82 offset1:83
	ds_read2_b32 v[6:7], v10 offset0:84 offset1:85
	ds_read2_b32 v[8:9], v10 offset0:86 offset1:87
	s_waitcnt lgkmcnt(3)
	v_fmac_f32_e32 v11, s42, v2
	v_fmac_f32_e32 v11, s44, v3
	s_waitcnt lgkmcnt(2)
	v_fmac_f32_e32 v11, s46, v4
	v_fmac_f32_e32 v11, s45, v5
	ds_read2_b32 v[2:3], v10 offset0:88 offset1:89
	s_waitcnt lgkmcnt(2)
	v_fmac_f32_e32 v11, s47, v6
	v_fmac_f32_e32 v11, s49, v7
	s_waitcnt lgkmcnt(1)
	v_fmac_f32_e32 v11, s48, v8
	v_fmac_f32_e32 v11, s50, v9
	ds_read2_b32 v[4:5], v10 offset0:90 offset1:91
	ds_read2_b32 v[6:7], v10 offset0:92 offset1:93
	ds_read2_b32 v[8:9], v10 offset0:94 offset1:95
	s_waitcnt lgkmcnt(3)
	v_fmac_f32_e32 v11, s51, v2
	global_store_dword v[0:1], v11, off offset:320
	v_fma_f32 v11, s5, v2, 0
	v_fmac_f32_e32 v11, s22, v3
	s_waitcnt lgkmcnt(2)
	v_fmac_f32_e32 v11, s38, v4
	v_fmac_f32_e32 v11, s19, v5
	ds_read2_b32 v[2:3], v10 offset0:96 offset1:97
	s_waitcnt lgkmcnt(2)
	v_fmac_f32_e32 v11, s40, v6
	v_fmac_f32_e32 v11, s39, v7
	s_waitcnt lgkmcnt(1)
	v_fmac_f32_e32 v11, s41, v8
	v_fmac_f32_e32 v11, s43, v9
	ds_read2_b32 v[4:5], v10 offset0:98 offset1:99
	ds_read2_b32 v[6:7], v10 offset0:100 offset1:101
	ds_read2_b32 v[8:9], v10 offset0:102 offset1:103
	s_waitcnt lgkmcnt(3)
	v_fmac_f32_e32 v11, s42, v2
	v_fmac_f32_e32 v11, s44, v3
	s_waitcnt lgkmcnt(2)
	v_fmac_f32_e32 v11, s46, v4
	v_fmac_f32_e32 v11, s45, v5
	ds_read2_b32 v[2:3], v10 offset0:104 offset1:105
	s_waitcnt lgkmcnt(2)
	v_fmac_f32_e32 v11, s47, v6
	v_fmac_f32_e32 v11, s49, v7
	s_waitcnt lgkmcnt(1)
	v_fmac_f32_e32 v11, s48, v8
	v_fmac_f32_e32 v11, s50, v9
	ds_read2_b32 v[4:5], v10 offset0:106 offset1:107
	ds_read2_b32 v[6:7], v10 offset0:108 offset1:109
	ds_read2_b32 v[8:9], v10 offset0:110 offset1:111
	s_waitcnt lgkmcnt(3)
	v_fmac_f32_e32 v11, s51, v2
	global_store_dword v[0:1], v11, off offset:384
	v_fma_f32 v11, s5, v2, 0
	v_fmac_f32_e32 v11, s18, v3
	s_waitcnt lgkmcnt(2)
	v_fmac_f32_e32 v11, s16, v4
	v_fmac_f32_e32 v11, s14, v5
	ds_read2_b32 v[2:3], v10 offset0:112 offset1:113
	s_waitcnt lgkmcnt(2)
	v_fmac_f32_e32 v11, s28, v6
	v_fmac_f32_e32 v11, s12, v7
	;; [unrolled: 34-line block ×3, first 2 shown]
	s_waitcnt lgkmcnt(1)
	v_fmac_f32_e32 v11, s10, v8
	v_fmac_f32_e32 v11, s34, v9
	ds_read2_b32 v[4:5], v10 offset0:130 offset1:131
	ds_read2_b32 v[6:7], v10 offset0:132 offset1:133
	;; [unrolled: 1-line block ×3, first 2 shown]
	s_waitcnt lgkmcnt(3)
	v_fmac_f32_e32 v11, s8, v2
	v_fmac_f32_e32 v11, s24, v3
	s_waitcnt lgkmcnt(2)
	v_fmac_f32_e32 v11, s26, v4
	v_fmac_f32_e32 v11, s6, v5
	ds_read_b32 v2, v10 offset:544
	s_waitcnt lgkmcnt(2)
	v_fmac_f32_e32 v11, s4, v6
	v_fmac_f32_e32 v11, s30, v7
	s_waitcnt lgkmcnt(1)
	v_fmac_f32_e32 v11, s2, v8
	v_fmac_f32_e32 v11, s0, v9
	s_waitcnt lgkmcnt(0)
	v_fmac_f32_e32 v11, s36, v2
	global_store_dword v[0:1], v11, off offset:512
	s_endpgm
	.section	.rodata,"a",@progbits
	.p2align	6, 0x0
	.amdhsa_kernel _Z9conv_rowsPfPKfS1_iii
		.amdhsa_group_segment_fixed_size 2560
		.amdhsa_private_segment_fixed_size 0
		.amdhsa_kernarg_size 36
		.amdhsa_user_sgpr_count 6
		.amdhsa_user_sgpr_private_segment_buffer 1
		.amdhsa_user_sgpr_dispatch_ptr 0
		.amdhsa_user_sgpr_queue_ptr 0
		.amdhsa_user_sgpr_kernarg_segment_ptr 1
		.amdhsa_user_sgpr_dispatch_id 0
		.amdhsa_user_sgpr_flat_scratch_init 0
		.amdhsa_user_sgpr_private_segment_size 0
		.amdhsa_uses_dynamic_stack 0
		.amdhsa_system_sgpr_private_segment_wavefront_offset 0
		.amdhsa_system_sgpr_workgroup_id_x 1
		.amdhsa_system_sgpr_workgroup_id_y 1
		.amdhsa_system_sgpr_workgroup_id_z 0
		.amdhsa_system_sgpr_workgroup_info 0
		.amdhsa_system_vgpr_workitem_id 1
		.amdhsa_next_free_vgpr 29
		.amdhsa_next_free_sgpr 67
		.amdhsa_reserve_vcc 1
		.amdhsa_reserve_flat_scratch 0
		.amdhsa_float_round_mode_32 0
		.amdhsa_float_round_mode_16_64 0
		.amdhsa_float_denorm_mode_32 3
		.amdhsa_float_denorm_mode_16_64 3
		.amdhsa_dx10_clamp 1
		.amdhsa_ieee_mode 1
		.amdhsa_fp16_overflow 0
		.amdhsa_exception_fp_ieee_invalid_op 0
		.amdhsa_exception_fp_denorm_src 0
		.amdhsa_exception_fp_ieee_div_zero 0
		.amdhsa_exception_fp_ieee_overflow 0
		.amdhsa_exception_fp_ieee_underflow 0
		.amdhsa_exception_fp_ieee_inexact 0
		.amdhsa_exception_int_div_zero 0
	.end_amdhsa_kernel
	.text
.Lfunc_end0:
	.size	_Z9conv_rowsPfPKfS1_iii, .Lfunc_end0-_Z9conv_rowsPfPKfS1_iii
                                        ; -- End function
	.set _Z9conv_rowsPfPKfS1_iii.num_vgpr, 17
	.set _Z9conv_rowsPfPKfS1_iii.num_agpr, 0
	.set _Z9conv_rowsPfPKfS1_iii.numbered_sgpr, 67
	.set _Z9conv_rowsPfPKfS1_iii.num_named_barrier, 0
	.set _Z9conv_rowsPfPKfS1_iii.private_seg_size, 0
	.set _Z9conv_rowsPfPKfS1_iii.uses_vcc, 1
	.set _Z9conv_rowsPfPKfS1_iii.uses_flat_scratch, 0
	.set _Z9conv_rowsPfPKfS1_iii.has_dyn_sized_stack, 0
	.set _Z9conv_rowsPfPKfS1_iii.has_recursion, 0
	.set _Z9conv_rowsPfPKfS1_iii.has_indirect_call, 0
	.section	.AMDGPU.csdata,"",@progbits
; Kernel info:
; codeLenInByte = 2124
; TotalNumSgprs: 71
; NumVgprs: 17
; ScratchSize: 0
; MemoryBound: 0
; FloatMode: 240
; IeeeMode: 1
; LDSByteSize: 2560 bytes/workgroup (compile time only)
; SGPRBlocks: 8
; VGPRBlocks: 7
; NumSGPRsForWavesPerEU: 71
; NumVGPRsForWavesPerEU: 29
; Occupancy: 8
; WaveLimiterHint : 0
; COMPUTE_PGM_RSRC2:SCRATCH_EN: 0
; COMPUTE_PGM_RSRC2:USER_SGPR: 6
; COMPUTE_PGM_RSRC2:TRAP_HANDLER: 0
; COMPUTE_PGM_RSRC2:TGID_X_EN: 1
; COMPUTE_PGM_RSRC2:TGID_Y_EN: 1
; COMPUTE_PGM_RSRC2:TGID_Z_EN: 0
; COMPUTE_PGM_RSRC2:TIDIG_COMP_CNT: 1
	.text
	.protected	_Z9conv_colsPfPKfS1_iii ; -- Begin function _Z9conv_colsPfPKfS1_iii
	.globl	_Z9conv_colsPfPKfS1_iii
	.p2align	8
	.type	_Z9conv_colsPfPKfS1_iii,@function
_Z9conv_colsPfPKfS1_iii:                ; @_Z9conv_colsPfPKfS1_iii
; %bb.0:
	s_load_dwordx2 s[8:9], s[4:5], 0x1c
	s_lshl_b32 s0, s7, 6
	v_add3_u32 v8, v1, s0, -8
	s_load_dwordx4 s[0:3], s[4:5], 0x0
	s_load_dwordx2 s[22:23], s[4:5], 0x10
	s_lshl_b32 s4, s6, 4
	s_waitcnt lgkmcnt(0)
	v_mul_lo_u32 v2, s9, v8
	v_lshlrev_b32_e32 v1, 2, v1
	v_mov_b32_e32 v5, s3
	v_add3_u32 v2, s4, v0, v2
	v_ashrrev_i32_e32 v3, 31, v2
	v_lshlrev_b64 v[2:3], 2, v[2:3]
	s_movk_i32 s4, 0x144
	v_add_co_u32_e32 v4, vcc, s2, v2
	s_lshl_b32 s2, s9, 3
	s_ashr_i32 s3, s2, 31
	v_addc_co_u32_e32 v5, vcc, v5, v3, vcc
	s_lshl_b64 s[40:41], s[2:3], 2
	v_mov_b32_e32 v7, s41
	v_add_co_u32_e32 v6, vcc, s40, v4
	s_ashr_i32 s3, s9, 31
	s_mov_b32 s2, s9
	v_addc_co_u32_e32 v7, vcc, v5, v7, vcc
	s_lshl_b64 s[2:3], s[2:3], 5
	v_mov_b32_e32 v21, s3
	v_add_co_u32_e32 v9, vcc, s2, v6
	v_addc_co_u32_e32 v10, vcc, v7, v21, vcc
	v_add_co_u32_e32 v11, vcc, s2, v9
	v_addc_co_u32_e32 v12, vcc, v10, v21, vcc
	v_add_co_u32_e32 v13, vcc, s2, v11
	v_addc_co_u32_e32 v14, vcc, v12, v21, vcc
	v_add_co_u32_e32 v15, vcc, s2, v13
	v_addc_co_u32_e32 v16, vcc, v14, v21, vcc
	v_add_co_u32_e32 v17, vcc, s2, v15
	v_addc_co_u32_e32 v18, vcc, v16, v21, vcc
	v_add_co_u32_e32 v19, vcc, s2, v17
	v_addc_co_u32_e32 v20, vcc, v18, v21, vcc
	global_load_dword v22, v[6:7], off
	global_load_dword v23, v[9:10], off
	;; [unrolled: 1-line block ×7, first 2 shown]
	v_add_co_u32_e32 v6, vcc, s2, v19
	v_addc_co_u32_e32 v7, vcc, v20, v21, vcc
	global_load_dword v11, v[6:7], off
	v_mov_b32_e32 v9, 0
	v_mad_u32_u24 v10, v0, s4, v1
	v_cmp_lt_i32_e32 vcc, -1, v8
	v_mov_b32_e32 v0, 0
	s_waitcnt vmcnt(6)
	ds_write2_b32 v10, v22, v23 offset0:8 offset1:16
	s_waitcnt vmcnt(4)
	ds_write2_b32 v10, v24, v25 offset0:24 offset1:32
	;; [unrolled: 2-line block ×4, first 2 shown]
	s_and_saveexec_b64 s[4:5], vcc
	s_cbranch_execz .LBB1_2
; %bb.1:
	global_load_dword v0, v[4:5], off
.LBB1_2:
	s_or_b64 exec, exec, s[4:5]
	s_waitcnt vmcnt(0)
	ds_write_b32 v10, v0
	v_add_u32_e32 v0, 0x48, v8
	v_cmp_gt_i32_e32 vcc, s8, v0
	s_and_saveexec_b64 s[4:5], vcc
	s_cbranch_execz .LBB1_4
; %bb.3:
	v_mov_b32_e32 v1, s3
	v_add_co_u32_e32 v0, vcc, s2, v6
	v_addc_co_u32_e32 v1, vcc, v7, v1, vcc
	global_load_dword v9, v[0:1], off
.LBB1_4:
	s_or_b64 exec, exec, s[4:5]
	v_mov_b32_e32 v0, s1
	v_add_co_u32_e32 v11, vcc, s0, v2
	s_waitcnt vmcnt(0)
	ds_write_b32 v10, v9 offset:288
	s_waitcnt lgkmcnt(0)
	s_barrier
	s_load_dwordx2 s[0:1], s[22:23], 0x4
	s_load_dwordx2 s[2:3], s[22:23], 0x8
	;; [unrolled: 1-line block ×10, first 2 shown]
	v_addc_co_u32_e32 v12, vcc, v0, v3, vcc
	ds_read2_b32 v[6:7], v10 offset1:1
	ds_read2_b32 v[2:3], v10 offset0:2 offset1:3
	ds_read2_b32 v[4:5], v10 offset0:4 offset1:5
	;; [unrolled: 1-line block ×3, first 2 shown]
	s_load_dword s49, s[22:23], 0x38
	s_load_dwordx2 s[38:39], s[22:23], 0x3c
	s_load_dword s33, s[22:23], 0x38
	s_waitcnt lgkmcnt(0)
	v_fma_f32 v21, s21, v6, 0
	v_fmac_f32_e32 v21, s19, v7
	s_load_dword s56, s[22:23], 0x34
	s_load_dword s42, s[22:23], 0x34
	v_fmac_f32_e32 v21, s17, v2
	s_load_dwordx2 s[24:25], s[22:23], 0x30
	s_load_dword s57, s[22:23], 0x2c
	s_load_dword s58, s[22:23], 0x30
	;; [unrolled: 1-line block ×4, first 2 shown]
	s_waitcnt lgkmcnt(0)
	v_fmac_f32_e32 v21, s25, v3
	s_load_dword s59, s[22:23], 0x28
	s_load_dword s45, s[22:23], 0x28
	s_load_dwordx2 s[26:27], s[22:23], 0x24
	s_load_dword s60, s[22:23], 0x20
	s_load_dword s61, s[22:23], 0x24
	;; [unrolled: 1-line block ×4, first 2 shown]
	ds_read2_b32 v[2:3], v10 offset0:8 offset1:9
	v_fmac_f32_e32 v21, s15, v4
	v_fmac_f32_e32 v21, s13, v5
	s_load_dwordx2 s[28:29], s[22:23], 0x1c
	s_load_dword s62, s[22:23], 0x1c
	s_load_dword s48, s[22:23], 0x1c
	s_waitcnt lgkmcnt(0)
	v_fmac_f32_e32 v21, s27, v0
	v_fmac_f32_e32 v21, s11, v1
	ds_read2_b32 v[0:1], v10 offset0:10 offset1:11
	ds_read2_b32 v[4:5], v10 offset0:12 offset1:13
	;; [unrolled: 1-line block ×3, first 2 shown]
	v_fmac_f32_e32 v21, s29, v2
	s_load_dwordx2 s[30:31], s[22:23], 0x18
	s_load_dword s63, s[22:23], 0x14
	s_load_dword s64, s[22:23], 0x18
	;; [unrolled: 1-line block ×4, first 2 shown]
	s_waitcnt lgkmcnt(0)
	v_fmac_f32_e32 v21, s31, v3
	s_load_dword s65, s[22:23], 0x10
	s_load_dword s52, s[22:23], 0x10
	v_fmac_f32_e32 v21, s7, v0
	s_load_dwordx2 s[34:35], s[22:23], 0xc
	s_load_dword s66, s[22:23], 0x8
	s_load_dword s67, s[22:23], 0xc
	;; [unrolled: 1-line block ×6, first 2 shown]
	s_load_dwordx2 s[36:37], s[22:23], 0x0
	v_fmac_f32_e32 v21, s5, v1
	ds_read2_b32 v[8:9], v10 offset0:16 offset1:17
	s_waitcnt lgkmcnt(0)
	v_fmac_f32_e32 v21, s35, v4
	v_fmac_f32_e32 v21, s3, v5
	s_load_dword s69, s[22:23], 0x0
	s_load_dword s70, s[22:23], 0x0
	;; [unrolled: 1-line block ×3, first 2 shown]
	v_fmac_f32_e32 v21, s1, v6
	v_fmac_f32_e32 v21, s37, v7
	v_mov_b32_e32 v20, s41
	v_add_co_u32_e32 v19, vcc, s40, v11
	s_waitcnt lgkmcnt(0)
	v_fmac_f32_e32 v21, s69, v8
	v_addc_co_u32_e32 v20, vcc, v12, v20, vcc
	ds_read2_b32 v[13:14], v10 offset0:18 offset1:19
	ds_read2_b32 v[15:16], v10 offset0:20 offset1:21
	;; [unrolled: 1-line block ×3, first 2 shown]
	global_store_dword v[19:20], v21, off
	v_fma_f32 v21, s21, v2, 0
	v_fmac_f32_e32 v21, s19, v3
	v_fmac_f32_e32 v21, s17, v0
	;; [unrolled: 1-line block ×9, first 2 shown]
	s_waitcnt lgkmcnt(2)
	v_fmac_f32_e32 v21, s7, v13
	v_fmac_f32_e32 v21, s5, v14
	ds_read2_b32 v[4:5], v10 offset0:24 offset1:25
	s_waitcnt lgkmcnt(2)
	v_fmac_f32_e32 v21, s35, v15
	s_lshl_b32 s40, s9, 4
	v_fmac_f32_e32 v21, s3, v16
	s_ashr_i32 s41, s40, 31
	s_waitcnt lgkmcnt(1)
	v_fmac_f32_e32 v21, s1, v17
	s_lshl_b64 s[40:41], s[40:41], 2
	v_fmac_f32_e32 v21, s37, v18
	v_mov_b32_e32 v20, s41
	v_add_co_u32_e32 v19, vcc, s40, v11
	s_waitcnt lgkmcnt(0)
	v_fmac_f32_e32 v21, s69, v4
	v_addc_co_u32_e32 v20, vcc, v12, v20, vcc
	ds_read2_b32 v[6:7], v10 offset0:26 offset1:27
	ds_read2_b32 v[2:3], v10 offset0:28 offset1:29
	;; [unrolled: 1-line block ×3, first 2 shown]
	global_store_dword v[19:20], v21, off
	v_fma_f32 v21, s21, v8, 0
	v_fmac_f32_e32 v21, s19, v9
	v_fmac_f32_e32 v21, s49, v13
	;; [unrolled: 1-line block ×9, first 2 shown]
	s_waitcnt lgkmcnt(2)
	v_fmac_f32_e32 v21, s64, v6
	v_fmac_f32_e32 v21, s63, v7
	ds_read2_b32 v[8:9], v10 offset0:32 offset1:33
	s_waitcnt lgkmcnt(2)
	v_fmac_f32_e32 v21, s65, v2
	s_mul_i32 s40, s9, 24
	v_fmac_f32_e32 v21, s67, v3
	ds_read2_b32 v[13:14], v10 offset0:34 offset1:35
	ds_read2_b32 v[15:16], v10 offset0:36 offset1:37
	;; [unrolled: 1-line block ×3, first 2 shown]
	s_ashr_i32 s41, s40, 31
	s_load_dword s3, s[22:23], 0x3c
	s_load_dword s1, s[22:23], 0x40
	s_waitcnt lgkmcnt(0)
	v_fmac_f32_e32 v21, s66, v0
	s_lshl_b64 s[40:41], s[40:41], 2
	v_fmac_f32_e32 v21, s68, v1
	v_mov_b32_e32 v20, s41
	v_add_co_u32_e32 v19, vcc, s40, v11
	v_fmac_f32_e32 v21, s70, v8
	v_addc_co_u32_e32 v20, vcc, v12, v20, vcc
	global_store_dword v[19:20], v21, off
	v_fma_f32 v21, s39, v4, 0
	v_fmac_f32_e32 v21, s3, v5
	v_fmac_f32_e32 v21, s49, v6
	;; [unrolled: 1-line block ×11, first 2 shown]
	ds_read2_b32 v[0:1], v10 offset0:40 offset1:41
	v_fmac_f32_e32 v21, s65, v15
	s_lshl_b32 s22, s9, 5
	v_fmac_f32_e32 v21, s67, v16
	s_ashr_i32 s23, s22, 31
	v_fmac_f32_e32 v21, s66, v17
	s_lshl_b64 s[22:23], s[22:23], 2
	v_fmac_f32_e32 v21, s68, v18
	v_mov_b32_e32 v20, s23
	v_add_co_u32_e32 v19, vcc, s22, v11
	s_waitcnt lgkmcnt(0)
	v_fmac_f32_e32 v21, s70, v0
	v_addc_co_u32_e32 v20, vcc, v12, v20, vcc
	ds_read2_b32 v[2:3], v10 offset0:42 offset1:43
	ds_read2_b32 v[4:5], v10 offset0:44 offset1:45
	ds_read2_b32 v[6:7], v10 offset0:46 offset1:47
	global_store_dword v[19:20], v21, off
	v_fma_f32 v21, s39, v8, 0
	v_fmac_f32_e32 v21, s3, v9
	v_fmac_f32_e32 v21, s33, v13
	v_fmac_f32_e32 v21, s42, v14
	v_fmac_f32_e32 v21, s44, v15
	v_fmac_f32_e32 v21, s43, v16
	v_fmac_f32_e32 v21, s45, v17
	v_fmac_f32_e32 v21, s47, v18
	v_fmac_f32_e32 v21, s46, v0
	v_fmac_f32_e32 v21, s48, v1
	s_waitcnt lgkmcnt(2)
	v_fmac_f32_e32 v21, s51, v2
	v_fmac_f32_e32 v21, s50, v3
	ds_read2_b32 v[8:9], v10 offset0:48 offset1:49
	s_waitcnt lgkmcnt(2)
	v_fmac_f32_e32 v21, s52, v4
	s_mul_i32 s22, s9, 40
	v_fmac_f32_e32 v21, s55, v5
	s_ashr_i32 s23, s22, 31
	s_waitcnt lgkmcnt(1)
	v_fmac_f32_e32 v21, s54, v6
	s_lshl_b64 s[22:23], s[22:23], 2
	v_fmac_f32_e32 v21, s53, v7
	v_mov_b32_e32 v20, s23
	v_add_co_u32_e32 v19, vcc, s22, v11
	s_waitcnt lgkmcnt(0)
	v_fmac_f32_e32 v21, s8, v8
	v_addc_co_u32_e32 v20, vcc, v12, v20, vcc
	ds_read2_b32 v[13:14], v10 offset0:50 offset1:51
	ds_read2_b32 v[15:16], v10 offset0:52 offset1:53
	ds_read2_b32 v[17:18], v10 offset0:54 offset1:55
	global_store_dword v[19:20], v21, off
	v_fma_f32 v21, s1, v0, 0
	v_fmac_f32_e32 v21, s38, v1
	v_fmac_f32_e32 v21, s33, v2
	v_fmac_f32_e32 v21, s42, v3
	v_fmac_f32_e32 v21, s44, v4
	v_fmac_f32_e32 v21, s43, v5
	v_fmac_f32_e32 v21, s45, v6
	v_fmac_f32_e32 v21, s47, v7
	v_fmac_f32_e32 v21, s46, v8
	v_fmac_f32_e32 v21, s48, v9
	s_waitcnt lgkmcnt(2)
	v_fmac_f32_e32 v21, s51, v13
	v_fmac_f32_e32 v21, s50, v14
	ds_read2_b32 v[0:1], v10 offset0:56 offset1:57
	s_waitcnt lgkmcnt(2)
	v_fmac_f32_e32 v21, s52, v15
	s_mul_i32 s22, s9, 48
	v_fmac_f32_e32 v21, s55, v16
	s_ashr_i32 s23, s22, 31
	s_waitcnt lgkmcnt(1)
	v_fmac_f32_e32 v21, s54, v17
	s_lshl_b64 s[22:23], s[22:23], 2
	v_fmac_f32_e32 v21, s53, v18
	v_mov_b32_e32 v20, s23
	v_add_co_u32_e32 v19, vcc, s22, v11
	s_waitcnt lgkmcnt(0)
	v_fmac_f32_e32 v21, s8, v0
	v_addc_co_u32_e32 v20, vcc, v12, v20, vcc
	ds_read2_b32 v[2:3], v10 offset0:58 offset1:59
	ds_read2_b32 v[4:5], v10 offset0:60 offset1:61
	ds_read2_b32 v[6:7], v10 offset0:62 offset1:63
	global_store_dword v[19:20], v21, off
	v_fma_f32 v21, s1, v8, 0
	v_fmac_f32_e32 v21, s38, v9
	v_fmac_f32_e32 v21, s18, v13
	v_fmac_f32_e32 v21, s16, v14
	v_fmac_f32_e32 v21, s24, v15
	v_fmac_f32_e32 v21, s14, v16
	v_fmac_f32_e32 v21, s12, v17
	v_fmac_f32_e32 v21, s26, v18
	v_fmac_f32_e32 v21, s10, v0
	v_fmac_f32_e32 v21, s28, v1
	s_waitcnt lgkmcnt(2)
	v_fmac_f32_e32 v21, s30, v2
	v_fmac_f32_e32 v21, s6, v3
	ds_read2_b32 v[8:9], v10 offset0:64 offset1:65
	s_waitcnt lgkmcnt(2)
	v_fmac_f32_e32 v21, s4, v4
	s_mul_i32 s22, s9, 56
	v_fmac_f32_e32 v21, s34, v5
	s_ashr_i32 s23, s22, 31
	s_waitcnt lgkmcnt(1)
	v_fmac_f32_e32 v21, s2, v6
	s_lshl_b64 s[22:23], s[22:23], 2
	v_fmac_f32_e32 v21, s0, v7
	v_mov_b32_e32 v20, s23
	v_add_co_u32_e32 v19, vcc, s22, v11
	s_waitcnt lgkmcnt(0)
	v_fmac_f32_e32 v21, s36, v8
	v_addc_co_u32_e32 v20, vcc, v12, v20, vcc
	ds_read2_b32 v[13:14], v10 offset0:66 offset1:67
	ds_read2_b32 v[15:16], v10 offset0:68 offset1:69
	;; [unrolled: 1-line block ×3, first 2 shown]
	global_store_dword v[19:20], v21, off
	v_fma_f32 v19, s1, v0, 0
	v_fmac_f32_e32 v19, s20, v1
	v_fmac_f32_e32 v19, s18, v2
	;; [unrolled: 1-line block ×9, first 2 shown]
	s_waitcnt lgkmcnt(2)
	v_fmac_f32_e32 v19, s30, v13
	v_fmac_f32_e32 v19, s6, v14
	s_waitcnt lgkmcnt(1)
	v_fmac_f32_e32 v19, s4, v15
	ds_read_b32 v0, v10 offset:288
	v_fmac_f32_e32 v19, s34, v16
	s_waitcnt lgkmcnt(1)
	v_fmac_f32_e32 v19, s2, v17
	v_fmac_f32_e32 v19, s0, v18
	s_lshl_b32 s0, s9, 6
	s_ashr_i32 s1, s0, 31
	s_lshl_b64 s[0:1], s[0:1], 2
	s_waitcnt lgkmcnt(0)
	v_fmac_f32_e32 v19, s36, v0
	v_mov_b32_e32 v1, s1
	v_add_co_u32_e32 v0, vcc, s0, v11
	v_addc_co_u32_e32 v1, vcc, v12, v1, vcc
	global_store_dword v[0:1], v19, off
	s_endpgm
	.section	.rodata,"a",@progbits
	.p2align	6, 0x0
	.amdhsa_kernel _Z9conv_colsPfPKfS1_iii
		.amdhsa_group_segment_fixed_size 5184
		.amdhsa_private_segment_fixed_size 0
		.amdhsa_kernarg_size 36
		.amdhsa_user_sgpr_count 6
		.amdhsa_user_sgpr_private_segment_buffer 1
		.amdhsa_user_sgpr_dispatch_ptr 0
		.amdhsa_user_sgpr_queue_ptr 0
		.amdhsa_user_sgpr_kernarg_segment_ptr 1
		.amdhsa_user_sgpr_dispatch_id 0
		.amdhsa_user_sgpr_flat_scratch_init 0
		.amdhsa_user_sgpr_private_segment_size 0
		.amdhsa_uses_dynamic_stack 0
		.amdhsa_system_sgpr_private_segment_wavefront_offset 0
		.amdhsa_system_sgpr_workgroup_id_x 1
		.amdhsa_system_sgpr_workgroup_id_y 1
		.amdhsa_system_sgpr_workgroup_id_z 0
		.amdhsa_system_sgpr_workgroup_info 0
		.amdhsa_system_vgpr_workitem_id 1
		.amdhsa_next_free_vgpr 29
		.amdhsa_next_free_sgpr 71
		.amdhsa_reserve_vcc 1
		.amdhsa_reserve_flat_scratch 0
		.amdhsa_float_round_mode_32 0
		.amdhsa_float_round_mode_16_64 0
		.amdhsa_float_denorm_mode_32 3
		.amdhsa_float_denorm_mode_16_64 3
		.amdhsa_dx10_clamp 1
		.amdhsa_ieee_mode 1
		.amdhsa_fp16_overflow 0
		.amdhsa_exception_fp_ieee_invalid_op 0
		.amdhsa_exception_fp_denorm_src 0
		.amdhsa_exception_fp_ieee_div_zero 0
		.amdhsa_exception_fp_ieee_overflow 0
		.amdhsa_exception_fp_ieee_underflow 0
		.amdhsa_exception_fp_ieee_inexact 0
		.amdhsa_exception_int_div_zero 0
	.end_amdhsa_kernel
	.text
.Lfunc_end1:
	.size	_Z9conv_colsPfPKfS1_iii, .Lfunc_end1-_Z9conv_colsPfPKfS1_iii
                                        ; -- End function
	.set _Z9conv_colsPfPKfS1_iii.num_vgpr, 29
	.set _Z9conv_colsPfPKfS1_iii.num_agpr, 0
	.set _Z9conv_colsPfPKfS1_iii.numbered_sgpr, 71
	.set _Z9conv_colsPfPKfS1_iii.num_named_barrier, 0
	.set _Z9conv_colsPfPKfS1_iii.private_seg_size, 0
	.set _Z9conv_colsPfPKfS1_iii.uses_vcc, 1
	.set _Z9conv_colsPfPKfS1_iii.uses_flat_scratch, 0
	.set _Z9conv_colsPfPKfS1_iii.has_dyn_sized_stack, 0
	.set _Z9conv_colsPfPKfS1_iii.has_recursion, 0
	.set _Z9conv_colsPfPKfS1_iii.has_indirect_call, 0
	.section	.AMDGPU.csdata,"",@progbits
; Kernel info:
; codeLenInByte = 2068
; TotalNumSgprs: 75
; NumVgprs: 29
; ScratchSize: 0
; MemoryBound: 0
; FloatMode: 240
; IeeeMode: 1
; LDSByteSize: 5184 bytes/workgroup (compile time only)
; SGPRBlocks: 9
; VGPRBlocks: 7
; NumSGPRsForWavesPerEU: 75
; NumVGPRsForWavesPerEU: 29
; Occupancy: 8
; WaveLimiterHint : 0
; COMPUTE_PGM_RSRC2:SCRATCH_EN: 0
; COMPUTE_PGM_RSRC2:USER_SGPR: 6
; COMPUTE_PGM_RSRC2:TRAP_HANDLER: 0
; COMPUTE_PGM_RSRC2:TGID_X_EN: 1
; COMPUTE_PGM_RSRC2:TGID_Y_EN: 1
; COMPUTE_PGM_RSRC2:TGID_Z_EN: 0
; COMPUTE_PGM_RSRC2:TIDIG_COMP_CNT: 1
	.section	.AMDGPU.gpr_maximums,"",@progbits
	.set amdgpu.max_num_vgpr, 0
	.set amdgpu.max_num_agpr, 0
	.set amdgpu.max_num_sgpr, 0
	.section	.AMDGPU.csdata,"",@progbits
	.type	__hip_cuid_fe938b1344656e2c,@object ; @__hip_cuid_fe938b1344656e2c
	.section	.bss,"aw",@nobits
	.globl	__hip_cuid_fe938b1344656e2c
__hip_cuid_fe938b1344656e2c:
	.byte	0                               ; 0x0
	.size	__hip_cuid_fe938b1344656e2c, 1

	.ident	"AMD clang version 22.0.0git (https://github.com/RadeonOpenCompute/llvm-project roc-7.2.4 26084 f58b06dce1f9c15707c5f808fd002e18c2accf7e)"
	.section	".note.GNU-stack","",@progbits
	.addrsig
	.addrsig_sym __hip_cuid_fe938b1344656e2c
	.amdgpu_metadata
---
amdhsa.kernels:
  - .args:
      - .actual_access:  write_only
        .address_space:  global
        .offset:         0
        .size:           8
        .value_kind:     global_buffer
      - .actual_access:  read_only
        .address_space:  global
        .offset:         8
        .size:           8
        .value_kind:     global_buffer
      - .actual_access:  read_only
        .address_space:  global
        .offset:         16
        .size:           8
        .value_kind:     global_buffer
      - .offset:         24
        .size:           4
        .value_kind:     by_value
      - .offset:         28
        .size:           4
        .value_kind:     by_value
      - .offset:         32
        .size:           4
        .value_kind:     by_value
    .group_segment_fixed_size: 2560
    .kernarg_segment_align: 8
    .kernarg_segment_size: 36
    .language:       OpenCL C
    .language_version:
      - 2
      - 0
    .max_flat_workgroup_size: 1024
    .name:           _Z9conv_rowsPfPKfS1_iii
    .private_segment_fixed_size: 0
    .sgpr_count:     71
    .sgpr_spill_count: 0
    .symbol:         _Z9conv_rowsPfPKfS1_iii.kd
    .uniform_work_group_size: 1
    .uses_dynamic_stack: false
    .vgpr_count:     17
    .vgpr_spill_count: 0
    .wavefront_size: 64
  - .args:
      - .actual_access:  write_only
        .address_space:  global
        .offset:         0
        .size:           8
        .value_kind:     global_buffer
      - .actual_access:  read_only
        .address_space:  global
        .offset:         8
        .size:           8
        .value_kind:     global_buffer
      - .actual_access:  read_only
        .address_space:  global
        .offset:         16
        .size:           8
        .value_kind:     global_buffer
      - .offset:         24
        .size:           4
        .value_kind:     by_value
      - .offset:         28
        .size:           4
        .value_kind:     by_value
      - .offset:         32
        .size:           4
        .value_kind:     by_value
    .group_segment_fixed_size: 5184
    .kernarg_segment_align: 8
    .kernarg_segment_size: 36
    .language:       OpenCL C
    .language_version:
      - 2
      - 0
    .max_flat_workgroup_size: 1024
    .name:           _Z9conv_colsPfPKfS1_iii
    .private_segment_fixed_size: 0
    .sgpr_count:     75
    .sgpr_spill_count: 0
    .symbol:         _Z9conv_colsPfPKfS1_iii.kd
    .uniform_work_group_size: 1
    .uses_dynamic_stack: false
    .vgpr_count:     29
    .vgpr_spill_count: 0
    .wavefront_size: 64
amdhsa.target:   amdgcn-amd-amdhsa--gfx906
amdhsa.version:
  - 1
  - 2
...

	.end_amdgpu_metadata
